;; amdgpu-corpus repo=ROCm/hip-tests kind=compiled arch=gfx1250 opt=O3
	.amdgcn_target "amdgcn-amd-amdhsa--gfx1250"
	.amdhsa_code_object_version 6
	.text
	.protected	_Z14fp16_arith_gpuPfS_S_ ; -- Begin function _Z14fp16_arith_gpuPfS_S_
	.globl	_Z14fp16_arith_gpuPfS_S_
	.p2align	8
	.type	_Z14fp16_arith_gpuPfS_S_,@function
_Z14fp16_arith_gpuPfS_S_:               ; @_Z14fp16_arith_gpuPfS_S_
; %bb.0:
	s_clause 0x1
	s_load_b128 s[4:7], s[0:1], 0x0
	s_load_b64 s[2:3], s[0:1], 0x10
	s_mov_b32 s9, 0xb155
	s_mov_b32 s10, 0xb7ff
	s_wait_kmcnt 0x0
	s_load_b32 s0, s[4:5], 0x0
	s_load_b32 s1, s[6:7], 0x0
	s_wait_kmcnt 0x0
	s_cvt_f16_f32 s0, s0
	s_cvt_f16_f32 s1, s1
	s_delay_alu instid0(SALU_CYCLE_3) | instskip(NEXT) | instid1(SALU_CYCLE_3)
	s_add_f16 s0, s0, s1
	s_cvt_f32_f16 s0, s0
	s_delay_alu instid0(SALU_CYCLE_3)
	v_dual_mov_b32 v0, 0 :: v_dual_mov_b32 v1, s0
	s_clause 0x2
	global_store_b32 v0, v1, s[2:3]
	global_load_b32 v1, v0, s[4:5] offset:4
	global_load_b32 v2, v0, s[6:7] offset:4
	s_wait_loadcnt 0x1
	v_cvt_f16_f32_e32 v1, v1
	s_wait_loadcnt 0x0
	v_cvt_f16_f32_e32 v2, v2
	s_delay_alu instid0(VALU_DEP_1) | instskip(NEXT) | instid1(VALU_DEP_1)
	v_sub_f16_e32 v1, v1, v2
	v_cvt_f32_f16_e32 v1, v1
	s_clause 0x2
	global_store_b32 v0, v1, s[2:3] offset:4
	global_load_b32 v1, v0, s[4:5] offset:8
	global_load_b32 v2, v0, s[6:7] offset:8
	s_wait_loadcnt 0x1
	v_cvt_f16_f32_e32 v1, v1
	s_wait_loadcnt 0x0
	v_cvt_f16_f32_e32 v2, v2
	s_delay_alu instid0(VALU_DEP_1) | instskip(NEXT) | instid1(VALU_DEP_1)
	v_mul_f16_e32 v1, v1, v2
	v_cvt_f32_f16_e32 v1, v1
	s_clause 0x2
	global_store_b32 v0, v1, s[2:3] offset:8
	global_load_b32 v1, v0, s[6:7] offset:12
	global_load_b32 v2, v0, s[4:5] offset:12
	s_wait_xcnt 0x1
	s_mov_b32 s6, 0xbfc90000
	s_mov_b32 s7, 0xb5aa2217
	s_wait_loadcnt 0x1
	v_cvt_f16_f32_e32 v1, v1
	s_wait_loadcnt 0x0
	v_cvt_f16_f32_e32 v2, v2
	s_delay_alu instid0(VALU_DEP_2) | instskip(NEXT) | instid1(VALU_DEP_2)
	v_cvt_f32_f16_e32 v3, v1
	v_cvt_f32_f16_e32 v4, v2
	s_delay_alu instid0(VALU_DEP_2) | instskip(SKIP_1) | instid1(TRANS32_DEP_1)
	v_rcp_f32_e32 v3, v3
	v_nop
	v_mul_f32_e32 v4, v4, v3
	s_delay_alu instid0(VALU_DEP_1) | instskip(NEXT) | instid1(VALU_DEP_1)
	v_fma_mix_f32 v5, -v1, v4, v2 op_sel_hi:[1,0,1]
	v_fmac_f32_e32 v4, v5, v3
	s_delay_alu instid0(VALU_DEP_1) | instskip(NEXT) | instid1(VALU_DEP_1)
	v_fma_mix_f32 v5, -v1, v4, v2 op_sel_hi:[1,0,1]
	v_mul_f32_e32 v3, v5, v3
	s_delay_alu instid0(VALU_DEP_1) | instskip(NEXT) | instid1(VALU_DEP_1)
	v_and_b32_e32 v3, 0xff800000, v3
	v_add_f32_e32 v3, v3, v4
	s_delay_alu instid0(VALU_DEP_1) | instskip(NEXT) | instid1(VALU_DEP_1)
	v_cvt_f16_f32_e32 v3, v3
	v_div_fixup_f16 v1, v3, v1, v2
	s_delay_alu instid0(VALU_DEP_1)
	v_cvt_f32_f16_e32 v1, v1
	s_clause 0x1
	global_store_b32 v0, v1, s[2:3] offset:12
	global_load_b32 v1, v0, s[4:5] offset:16
	s_wait_loadcnt 0x0
	v_cvt_f16_f32_e32 v1, v1
	s_delay_alu instid0(VALU_DEP_1) | instskip(NEXT) | instid1(VALU_DEP_1)
	v_floor_f16_e32 v1, v1
	v_cvt_f32_f16_e32 v1, v1
	s_clause 0x1
	global_store_b32 v0, v1, s[2:3] offset:16
	global_load_b32 v1, v0, s[4:5] offset:20
	s_wait_loadcnt 0x0
	v_cvt_f16_f32_e32 v1, v1
	s_delay_alu instid0(VALU_DEP_1) | instskip(NEXT) | instid1(VALU_DEP_1)
	v_trunc_f16_e32 v1, v1
	v_cvt_f32_f16_e32 v1, v1
	s_clause 0x1
	global_store_b32 v0, v1, s[2:3] offset:20
	global_load_b32 v1, v0, s[4:5] offset:24
	s_wait_loadcnt 0x0
	v_cvt_f16_f32_e32 v1, v1
	s_delay_alu instid0(VALU_DEP_1) | instskip(NEXT) | instid1(VALU_DEP_1)
	v_ceil_f16_e32 v1, v1
	v_cvt_f32_f16_e32 v1, v1
	s_clause 0x1
	global_store_b32 v0, v1, s[2:3] offset:24
	global_load_b32 v1, v0, s[4:5] offset:28
	s_wait_loadcnt 0x0
	v_cvt_f16_f32_e32 v1, v1
	s_delay_alu instid0(VALU_DEP_1) | instskip(NEXT) | instid1(VALU_DEP_1)
	v_rndne_f16_e32 v1, v1
	v_cvt_f32_f16_e32 v1, v1
	s_clause 0x1
	global_store_b32 v0, v1, s[2:3] offset:28
	global_load_b32 v1, v0, s[4:5] offset:32
	s_wait_loadcnt 0x0
	v_readfirstlane_b32 s0, v1
	s_cvt_f16_f32 s0, s0
	s_delay_alu instid0(SALU_CYCLE_3) | instskip(SKIP_3) | instid1(SALU_CYCLE_2)
	s_and_b32 s1, s0, 0x7fff
	v_mov_b32_e32 v1, s0
	s_cvt_f32_f16 s1, s1
	v_cmp_class_f16_e64 vcc_lo, s0, 0x1f8
	s_mul_f32 s1, s1, 0x3f22f983
	s_delay_alu instid0(SALU_CYCLE_3) | instskip(NEXT) | instid1(SALU_CYCLE_3)
	s_rndne_f32 s1, s1
	v_fma_mix_f32 v1, s1, s6, |v1| op_sel_hi:[0,0,1]
	s_delay_alu instid0(VALU_DEP_1) | instskip(NEXT) | instid1(VALU_DEP_1)
	v_fmac_f32_e64 v1, 0xb9fd0000, s1
	v_fma_mixlo_f16 v1, s1, s7, v1
	s_cvt_i32_f32 s1, s1
	s_delay_alu instid0(VALU_DEP_1) | instskip(SKIP_1) | instid1(SALU_CYCLE_3)
	v_readfirstlane_b32 s8, v1
	s_mul_f16 s8, s8, s8
	s_fmac_f16 s9, s8, 0x202c
	s_fmac_f16 s10, s8, 0x292d
	s_delay_alu instid0(SALU_CYCLE_2) | instskip(NEXT) | instid1(SALU_CYCLE_3)
	s_mul_f16 s9, s8, s9
	v_fmac_f16_e32 v1, s9, v1
	s_movk_i32 s9, 0x3c00
	s_delay_alu instid0(SALU_CYCLE_1) | instskip(NEXT) | instid1(VALU_DEP_1)
	s_fmac_f16 s9, s8, s10
	v_and_b32_e32 v1, 0xffff, v1
	s_delay_alu instid0(SALU_CYCLE_2)
	s_lshl_b32 s8, s9, 16
	s_delay_alu instid0(VALU_DEP_1) | instid1(SALU_CYCLE_1)
	v_or_b32_e32 v1, s8, v1
	s_lshl_b32 s8, s1, 4
	s_lshl_b32 s1, s1, 14
	s_delay_alu instid0(SALU_CYCLE_1) | instskip(NEXT) | instid1(VALU_DEP_1)
	s_xor_b32 s1, s1, s0
	v_lshrrev_b32_e32 v1, s8, v1
	s_and_b32 s1, s1, 0x8000
	s_delay_alu instid0(VALU_DEP_1) | instid1(SALU_CYCLE_1)
	v_xor_b32_e32 v1, s1, v1
	s_delay_alu instid0(VALU_DEP_1) | instskip(NEXT) | instid1(VALU_DEP_1)
	v_cndmask_b32_e32 v1, 0x7e00, v1, vcc_lo
	v_cvt_f32_f16_e32 v1, v1
	s_clause 0x1
	global_store_b32 v0, v1, s[2:3] offset:32
	global_load_b32 v1, v0, s[4:5] offset:36
	s_wait_loadcnt 0x0
	v_readfirstlane_b32 s0, v1
	s_cvt_f16_f32 s0, s0
	s_delay_alu instid0(SALU_CYCLE_3) | instskip(SKIP_2) | instid1(SALU_CYCLE_3)
	s_and_b32 s1, s0, 0x7fff
	v_mov_b32_e32 v1, s0
	s_cvt_f32_f16 s1, s1
	s_mul_f32 s1, s1, 0x3f22f983
	s_delay_alu instid0(SALU_CYCLE_3)
	s_rndne_f32 s1, s1
	s_delay_alu instid0(VALU_DEP_1) | instid1(SALU_CYCLE_3)
	v_fma_mix_f32 v1, s1, s6, |v1| op_sel_hi:[0,0,1]
	s_movk_i32 s6, 0x202c
	s_delay_alu instid0(VALU_DEP_1) | instskip(NEXT) | instid1(VALU_DEP_1)
	v_fmac_f32_e64 v1, 0xb9fd0000, s1
	v_fma_mixlo_f16 v1, s1, s7, v1
	s_cvt_i32_f32 s1, s1
	s_delay_alu instid0(SALU_CYCLE_3) | instskip(NEXT) | instid1(VALU_DEP_1)
	s_bitcmp0_b32 s1, 0
	v_mul_f16_e32 v2, v1, v1
	s_cselect_b32 vcc_lo, -1, 0
	s_lshl_b32 s1, s1, 14
	s_delay_alu instid0(SALU_CYCLE_1) | instskip(NEXT) | instid1(VALU_DEP_1)
	s_and_b32 s1, s1, 0x8000
	v_fmaak_f16 v3, s6, v2, 0xb155
	s_movk_i32 s6, 0x292d
	s_delay_alu instid0(SALU_CYCLE_1) | instskip(NEXT) | instid1(VALU_DEP_2)
	v_fmaak_f16 v4, s6, v2, 0xb7ff
	v_mul_f16_e32 v3, v2, v3
	s_delay_alu instid0(VALU_DEP_2) | instskip(NEXT) | instid1(VALU_DEP_2)
	v_fma_f16 v2, v2, v4, 1.0
	v_fmac_f16_e32 v1, v1, v3
	s_delay_alu instid0(VALU_DEP_1) | instskip(NEXT) | instid1(VALU_DEP_1)
	v_xor_b32_e32 v1, 0x8000, v1
	v_cndmask_b32_e32 v1, v1, v2, vcc_lo
	v_cmp_class_f16_e64 vcc_lo, s0, 0x1f8
	s_mov_b32 s0, 0x3f317218
	v_xor_b32_e32 v1, s1, v1
	s_delay_alu instid0(VALU_DEP_1) | instskip(NEXT) | instid1(VALU_DEP_1)
	v_cndmask_b32_e32 v1, 0x7e00, v1, vcc_lo
	v_cvt_f32_f16_e32 v1, v1
	s_clause 0x1
	global_store_b32 v0, v1, s[2:3] offset:36
	global_load_b32 v1, v0, s[4:5] offset:40
	s_wait_loadcnt 0x0
	v_cvt_f16_f32_e32 v1, v1
	s_delay_alu instid0(VALU_DEP_1) | instskip(NEXT) | instid1(VALU_DEP_1)
	v_cvt_f32_f16_e32 v1, v1
	v_mul_f32_e32 v1, 0x3fb8aa3b, v1
	s_delay_alu instid0(VALU_DEP_1) | instskip(SKIP_1) | instid1(TRANS32_DEP_1)
	v_exp_f32_e32 v1, v1
	v_nop
	v_cvt_f16_f32_e32 v1, v1
	s_delay_alu instid0(VALU_DEP_1)
	v_cvt_f32_f16_e32 v1, v1
	s_clause 0x1
	global_store_b32 v0, v1, s[2:3] offset:40
	global_load_b32 v1, v0, s[4:5] offset:44
	s_wait_loadcnt 0x0
	v_cvt_f16_f32_e32 v1, v1
	s_delay_alu instid0(VALU_DEP_1) | instskip(SKIP_1) | instid1(TRANS32_DEP_1)
	v_exp_f16_e32 v1, v1
	v_nop
	v_cvt_f32_f16_e32 v1, v1
	s_clause 0x1
	global_store_b32 v0, v1, s[2:3] offset:44
	global_load_b32 v1, v0, s[4:5] offset:48
	s_wait_loadcnt 0x0
	v_cvt_f16_f32_e32 v1, v1
	s_delay_alu instid0(VALU_DEP_1) | instskip(SKIP_1) | instid1(TRANS32_DEP_1)
	v_log_f16_e32 v1, v1
	v_nop
	v_cvt_f32_f16_e32 v1, v1
	s_clause 0x1
	global_store_b32 v0, v1, s[2:3] offset:48
	global_load_b32 v1, v0, s[4:5] offset:52
	s_wait_loadcnt 0x0
	v_cvt_f16_f32_e32 v1, v1
	s_delay_alu instid0(VALU_DEP_1) | instskip(NEXT) | instid1(VALU_DEP_1)
	v_cvt_f32_f16_e32 v1, v1
	v_log_f32_e32 v1, v1
	v_nop
	s_delay_alu instid0(TRANS32_DEP_1) | instskip(SKIP_1) | instid1(VALU_DEP_1)
	v_fma_mixlo_f16 v1, v1, s0, 0
	s_mov_b32 s0, 0x3e9a209b
	v_cvt_f32_f16_e32 v1, v1
	s_clause 0x1
	global_store_b32 v0, v1, s[2:3] offset:52
	global_load_b32 v1, v0, s[4:5] offset:56
	s_wait_loadcnt 0x0
	v_cvt_f16_f32_e32 v1, v1
	s_delay_alu instid0(VALU_DEP_1) | instskip(NEXT) | instid1(VALU_DEP_1)
	v_cvt_f32_f16_e32 v1, v1
	v_log_f32_e32 v1, v1
	v_nop
	s_delay_alu instid0(TRANS32_DEP_1) | instskip(NEXT) | instid1(VALU_DEP_1)
	v_fma_mixlo_f16 v1, v1, s0, 0
	v_cvt_f32_f16_e32 v1, v1
	s_clause 0x1
	global_store_b32 v0, v1, s[2:3] offset:56
	global_load_b32 v1, v0, s[4:5] offset:60
	s_wait_loadcnt 0x0
	v_cvt_f16_f32_e32 v1, v1
	s_delay_alu instid0(VALU_DEP_1) | instskip(SKIP_1) | instid1(TRANS32_DEP_1)
	v_sqrt_f16_e32 v1, v1
	v_nop
	v_cvt_f32_f16_e32 v1, v1
	s_clause 0x1
	global_store_b32 v0, v1, s[2:3] offset:60
	global_load_b32 v1, v0, s[4:5] offset:64
	s_wait_loadcnt 0x0
	v_xor_b32_e32 v1, 0x80000000, v1
	s_delay_alu instid0(VALU_DEP_1) | instskip(NEXT) | instid1(VALU_DEP_1)
	v_cvt_f16_f32_e32 v1, v1
	v_cvt_f32_f16_e32 v1, v1
	s_clause 0x1
	global_store_b32 v0, v1, s[2:3] offset:64
	global_load_b32 v1, v0, s[4:5] offset:68
	s_wait_loadcnt 0x0
	v_cvt_f16_f32_e32 v1, v1
	s_delay_alu instid0(VALU_DEP_1) | instskip(SKIP_1) | instid1(TRANS32_DEP_1)
	v_rcp_f16_e32 v1, v1
	v_nop
	v_cvt_f32_f16_e32 v1, v1
	global_store_b32 v0, v1, s[2:3] offset:68
	s_endpgm
	.section	.rodata,"a",@progbits
	.p2align	6, 0x0
	.amdhsa_kernel _Z14fp16_arith_gpuPfS_S_
		.amdhsa_group_segment_fixed_size 0
		.amdhsa_private_segment_fixed_size 0
		.amdhsa_kernarg_size 24
		.amdhsa_user_sgpr_count 2
		.amdhsa_user_sgpr_dispatch_ptr 0
		.amdhsa_user_sgpr_queue_ptr 0
		.amdhsa_user_sgpr_kernarg_segment_ptr 1
		.amdhsa_user_sgpr_dispatch_id 0
		.amdhsa_user_sgpr_kernarg_preload_length 0
		.amdhsa_user_sgpr_kernarg_preload_offset 0
		.amdhsa_user_sgpr_private_segment_size 0
		.amdhsa_wavefront_size32 1
		.amdhsa_uses_dynamic_stack 0
		.amdhsa_enable_private_segment 0
		.amdhsa_system_sgpr_workgroup_id_x 1
		.amdhsa_system_sgpr_workgroup_id_y 0
		.amdhsa_system_sgpr_workgroup_id_z 0
		.amdhsa_system_sgpr_workgroup_info 0
		.amdhsa_system_vgpr_workitem_id 0
		.amdhsa_next_free_vgpr 6
		.amdhsa_next_free_sgpr 11
		.amdhsa_named_barrier_count 0
		.amdhsa_reserve_vcc 1
		.amdhsa_float_round_mode_32 0
		.amdhsa_float_round_mode_16_64 0
		.amdhsa_float_denorm_mode_32 3
		.amdhsa_float_denorm_mode_16_64 3
		.amdhsa_fp16_overflow 0
		.amdhsa_memory_ordered 1
		.amdhsa_forward_progress 1
		.amdhsa_inst_pref_size 13
		.amdhsa_round_robin_scheduling 0
		.amdhsa_exception_fp_ieee_invalid_op 0
		.amdhsa_exception_fp_denorm_src 0
		.amdhsa_exception_fp_ieee_div_zero 0
		.amdhsa_exception_fp_ieee_overflow 0
		.amdhsa_exception_fp_ieee_underflow 0
		.amdhsa_exception_fp_ieee_inexact 0
		.amdhsa_exception_int_div_zero 0
	.end_amdhsa_kernel
	.text
.Lfunc_end0:
	.size	_Z14fp16_arith_gpuPfS_S_, .Lfunc_end0-_Z14fp16_arith_gpuPfS_S_
                                        ; -- End function
	.set _Z14fp16_arith_gpuPfS_S_.num_vgpr, 6
	.set _Z14fp16_arith_gpuPfS_S_.num_agpr, 0
	.set _Z14fp16_arith_gpuPfS_S_.numbered_sgpr, 11
	.set _Z14fp16_arith_gpuPfS_S_.num_named_barrier, 0
	.set _Z14fp16_arith_gpuPfS_S_.private_seg_size, 0
	.set _Z14fp16_arith_gpuPfS_S_.uses_vcc, 1
	.set _Z14fp16_arith_gpuPfS_S_.uses_flat_scratch, 0
	.set _Z14fp16_arith_gpuPfS_S_.has_dyn_sized_stack, 0
	.set _Z14fp16_arith_gpuPfS_S_.has_recursion, 0
	.set _Z14fp16_arith_gpuPfS_S_.has_indirect_call, 0
	.section	.AMDGPU.csdata,"",@progbits
; Kernel info:
; codeLenInByte = 1596
; TotalNumSgprs: 13
; NumVgprs: 6
; ScratchSize: 0
; MemoryBound: 0
; FloatMode: 240
; IeeeMode: 1
; LDSByteSize: 0 bytes/workgroup (compile time only)
; SGPRBlocks: 0
; VGPRBlocks: 0
; NumSGPRsForWavesPerEU: 13
; NumVGPRsForWavesPerEU: 6
; NamedBarCnt: 0
; Occupancy: 16
; WaveLimiterHint : 0
; COMPUTE_PGM_RSRC2:SCRATCH_EN: 0
; COMPUTE_PGM_RSRC2:USER_SGPR: 2
; COMPUTE_PGM_RSRC2:TRAP_HANDLER: 0
; COMPUTE_PGM_RSRC2:TGID_X_EN: 1
; COMPUTE_PGM_RSRC2:TGID_Y_EN: 0
; COMPUTE_PGM_RSRC2:TGID_Z_EN: 0
; COMPUTE_PGM_RSRC2:TIDIG_COMP_CNT: 0
	.text
	.protected	_Z15fp162_arith_gpuP15HIP_vector_typeIfLj2EES1_S1_ ; -- Begin function _Z15fp162_arith_gpuP15HIP_vector_typeIfLj2EES1_S1_
	.globl	_Z15fp162_arith_gpuP15HIP_vector_typeIfLj2EES1_S1_
	.p2align	8
	.type	_Z15fp162_arith_gpuP15HIP_vector_typeIfLj2EES1_S1_,@function
_Z15fp162_arith_gpuP15HIP_vector_typeIfLj2EES1_S1_: ; @_Z15fp162_arith_gpuP15HIP_vector_typeIfLj2EES1_S1_
; %bb.0:
	s_clause 0x1
	s_load_b128 s[4:7], s[0:1], 0x0
	s_load_b64 s[2:3], s[0:1], 0x10
	s_wait_kmcnt 0x0
	s_load_b64 s[0:1], s[4:5], 0x0
	s_load_b64 s[8:9], s[6:7], 0x0
	s_wait_kmcnt 0x0
	v_cvt_pk_f16_f32 v0, s0, s1
	v_cvt_pk_f16_f32 v1, s8, s9
	s_mov_b32 s0, 0xbfc90000
	s_mov_b32 s8, 0xb5aa2217
	s_delay_alu instid0(VALU_DEP_1) | instskip(NEXT) | instid1(VALU_DEP_1)
	v_pk_add_f16 v1, v0, v1
	v_dual_mov_b32 v0, 0 :: v_dual_lshrrev_b32 v3, 16, v1
	v_cvt_f32_f16_e32 v2, v1
	s_delay_alu instid0(VALU_DEP_2)
	v_cvt_f32_f16_e32 v3, v3
	s_clause 0x2
	global_store_b64 v0, v[2:3], s[2:3]
	global_load_b64 v[2:3], v0, s[4:5] offset:8
	global_load_b64 v[4:5], v0, s[6:7] offset:8
	s_wait_loadcnt 0x1
	v_cvt_pk_f16_f32 v1, v2, v3
	s_wait_loadcnt 0x0
	v_cvt_pk_f16_f32 v2, v4, v5
	s_delay_alu instid0(VALU_DEP_1) | instskip(NEXT) | instid1(VALU_DEP_1)
	v_pk_add_f16 v1, v1, v2 neg_lo:[0,1] neg_hi:[0,1]
	v_lshrrev_b32_e32 v3, 16, v1
	v_cvt_f32_f16_e32 v2, v1
	s_delay_alu instid0(VALU_DEP_2)
	v_cvt_f32_f16_e32 v3, v3
	s_clause 0x2
	global_store_b64 v0, v[2:3], s[2:3] offset:8
	global_load_b64 v[2:3], v0, s[4:5] offset:16
	global_load_b64 v[4:5], v0, s[6:7] offset:16
	s_wait_loadcnt 0x1
	v_cvt_pk_f16_f32 v1, v2, v3
	s_wait_loadcnt 0x0
	v_cvt_pk_f16_f32 v2, v4, v5
	s_delay_alu instid0(VALU_DEP_1) | instskip(NEXT) | instid1(VALU_DEP_1)
	v_pk_mul_f16 v1, v1, v2
	v_lshrrev_b32_e32 v3, 16, v1
	v_cvt_f32_f16_e32 v2, v1
	s_delay_alu instid0(VALU_DEP_2)
	v_cvt_f32_f16_e32 v3, v3
	s_clause 0x2
	global_store_b64 v0, v[2:3], s[2:3] offset:16
	global_load_b64 v[2:3], v0, s[6:7] offset:24
	global_load_b64 v[4:5], v0, s[4:5] offset:24
	s_wait_xcnt 0x1
	s_mov_b32 s6, 0xb9fd0000
	s_wait_loadcnt 0x1
	v_cvt_f16_f32_e32 v2, v2
	v_cvt_f16_f32_e32 v1, v3
	s_wait_loadcnt 0x0
	v_cvt_f16_f32_e32 v4, v4
	v_cvt_f16_f32_e32 v5, v5
	v_cvt_f32_f16_e32 v6, v2
	v_cvt_f32_f16_e32 v3, v1
	s_delay_alu instid0(VALU_DEP_4) | instskip(NEXT) | instid1(VALU_DEP_4)
	v_cvt_f32_f16_e32 v8, v4
	v_cvt_f32_f16_e32 v7, v5
	s_delay_alu instid0(VALU_DEP_4) | instskip(NEXT) | instid1(VALU_DEP_3)
	v_rcp_f32_e32 v6, v6
	v_rcp_f32_e32 v3, v3
	v_nop
	s_delay_alu instid0(TRANS32_DEP_1) | instskip(NEXT) | instid1(VALU_DEP_1)
	v_dual_mul_f32 v8, v8, v6 :: v_dual_mul_f32 v7, v7, v3
	v_fma_mix_f32 v10, -v2, v8, v4 op_sel_hi:[1,0,1]
	s_delay_alu instid0(VALU_DEP_2) | instskip(NEXT) | instid1(VALU_DEP_2)
	v_fma_mix_f32 v9, -v1, v7, v5 op_sel_hi:[1,0,1]
	v_fmac_f32_e32 v8, v10, v6
	s_delay_alu instid0(VALU_DEP_1) | instskip(NEXT) | instid1(VALU_DEP_1)
	v_fma_mix_f32 v10, -v2, v8, v4 op_sel_hi:[1,0,1]
	v_dual_fmac_f32 v7, v9, v3 :: v_dual_mul_f32 v6, v10, v6
	s_delay_alu instid0(VALU_DEP_1) | instskip(NEXT) | instid1(VALU_DEP_2)
	v_fma_mix_f32 v9, -v1, v7, v5 op_sel_hi:[1,0,1]
	v_and_b32_e32 v6, 0xff800000, v6
	s_delay_alu instid0(VALU_DEP_1) | instskip(NEXT) | instid1(VALU_DEP_1)
	v_dual_mul_f32 v3, v9, v3 :: v_dual_add_f32 v6, v6, v8
	v_and_b32_e32 v3, 0xff800000, v3
	s_delay_alu instid0(VALU_DEP_2) | instskip(NEXT) | instid1(VALU_DEP_2)
	v_cvt_f16_f32_e32 v6, v6
	v_add_f32_e32 v3, v3, v7
	s_delay_alu instid0(VALU_DEP_2) | instskip(NEXT) | instid1(VALU_DEP_2)
	v_div_fixup_f16 v2, v6, v2, v4
	v_cvt_f16_f32_e32 v3, v3
	s_delay_alu instid0(VALU_DEP_2) | instskip(NEXT) | instid1(VALU_DEP_2)
	v_cvt_f32_f16_e32 v2, v2
	v_div_fixup_f16 v1, v3, v1, v5
	s_delay_alu instid0(VALU_DEP_1)
	v_cvt_f32_f16_e32 v3, v1
	s_clause 0x1
	global_store_b64 v0, v[2:3], s[2:3] offset:24
	global_load_b64 v[2:3], v0, s[4:5] offset:32
	s_wait_loadcnt 0x0
	v_cvt_f16_f32_e32 v1, v3
	v_cvt_f16_f32_e32 v2, v2
	s_delay_alu instid0(VALU_DEP_2) | instskip(NEXT) | instid1(VALU_DEP_2)
	v_floor_f16_e32 v1, v1
	v_floor_f16_e32 v2, v2
	s_delay_alu instid0(VALU_DEP_2) | instskip(NEXT) | instid1(VALU_DEP_2)
	v_cvt_f32_f16_e32 v3, v1
	v_cvt_f32_f16_e32 v2, v2
	s_clause 0x1
	global_store_b64 v0, v[2:3], s[2:3] offset:32
	global_load_b64 v[2:3], v0, s[4:5] offset:40
	s_wait_loadcnt 0x0
	v_cvt_f16_f32_e32 v1, v3
	v_cvt_f16_f32_e32 v2, v2
	s_delay_alu instid0(VALU_DEP_2) | instskip(NEXT) | instid1(VALU_DEP_2)
	v_trunc_f16_e32 v1, v1
	v_trunc_f16_e32 v2, v2
	s_delay_alu instid0(VALU_DEP_2) | instskip(NEXT) | instid1(VALU_DEP_2)
	v_cvt_f32_f16_e32 v3, v1
	v_cvt_f32_f16_e32 v2, v2
	s_clause 0x1
	global_store_b64 v0, v[2:3], s[2:3] offset:40
	global_load_b64 v[2:3], v0, s[4:5] offset:48
	s_wait_loadcnt 0x0
	v_cvt_f16_f32_e32 v1, v3
	v_cvt_f16_f32_e32 v2, v2
	s_delay_alu instid0(VALU_DEP_2) | instskip(NEXT) | instid1(VALU_DEP_2)
	v_ceil_f16_e32 v1, v1
	v_ceil_f16_e32 v2, v2
	s_delay_alu instid0(VALU_DEP_2) | instskip(NEXT) | instid1(VALU_DEP_2)
	v_cvt_f32_f16_e32 v3, v1
	v_cvt_f32_f16_e32 v2, v2
	s_clause 0x1
	global_store_b64 v0, v[2:3], s[2:3] offset:48
	global_load_b64 v[2:3], v0, s[4:5] offset:56
	s_wait_loadcnt 0x0
	v_cvt_f16_f32_e32 v1, v3
	v_cvt_f16_f32_e32 v2, v2
	s_delay_alu instid0(VALU_DEP_2) | instskip(NEXT) | instid1(VALU_DEP_2)
	v_rndne_f16_e32 v1, v1
	v_rndne_f16_e32 v2, v2
	s_delay_alu instid0(VALU_DEP_2) | instskip(NEXT) | instid1(VALU_DEP_2)
	v_cvt_f32_f16_e32 v3, v1
	v_cvt_f32_f16_e32 v2, v2
	s_clause 0x1
	global_store_b64 v0, v[2:3], s[2:3] offset:56
	global_load_b64 v[2:3], v0, s[4:5] offset:64
	s_wait_loadcnt 0x0
	v_cvt_pk_f16_f32 v1, v2, v3
	s_delay_alu instid0(VALU_DEP_1) | instskip(SKIP_3) | instid1(VALU_DEP_4)
	v_lshrrev_b32_e32 v6, 16, v1
	v_and_b32_e32 v2, 0x7fff, v1
	v_and_b32_e32 v7, 0x80008000, v1
	v_cmp_class_f16_e64 vcc_lo, v1, 0x1f8
	v_and_b32_e32 v3, 0x7fff, v6
	s_delay_alu instid0(VALU_DEP_4) | instskip(NEXT) | instid1(VALU_DEP_4)
	v_cvt_f32_f16_e32 v2, v2
	v_lshrrev_b32_e32 v9, 16, v7
	s_delay_alu instid0(VALU_DEP_3) | instskip(NEXT) | instid1(VALU_DEP_1)
	v_cvt_f32_f16_e32 v3, v3
	v_dual_mul_f32 v4, 0x3f22f983, v2 :: v_dual_mul_f32 v5, 0x3f22f983, v3
	s_delay_alu instid0(VALU_DEP_1) | instskip(NEXT) | instid1(VALU_DEP_2)
	v_rndne_f32_e32 v4, v4
	v_rndne_f32_e32 v5, v5
	s_delay_alu instid0(VALU_DEP_1) | instskip(SKIP_1) | instid1(VALU_DEP_1)
	v_pk_fma_f32 v[2:3], v[4:5], s[0:1], v[2:3] op_sel_hi:[1,0,1]
	s_movk_i32 s1, 0x202c
	v_pk_fma_f32 v[2:3], v[4:5], s[6:7], v[2:3] op_sel_hi:[1,0,1]
	s_movk_i32 s7, 0x292d
	s_delay_alu instid0(VALU_DEP_1) | instskip(SKIP_2) | instid1(VALU_DEP_3)
	v_pk_fma_f32 v[2:3], v[4:5], s[8:9], v[2:3] op_sel_hi:[1,0,1]
	v_cvt_i32_f32_e32 v4, v4
	v_cvt_i32_f32_e32 v5, v5
	v_cvt_pk_f16_f32 v2, v2, v3
	s_delay_alu instid0(VALU_DEP_3) | instskip(NEXT) | instid1(VALU_DEP_2)
	v_dual_lshlrev_b32 v11, 4, v4 :: v_dual_lshlrev_b32 v4, 14, v4
	v_pk_mul_f16 v3, v2, v2
	s_delay_alu instid0(VALU_DEP_2) | instskip(NEXT) | instid1(VALU_DEP_2)
	v_and_b32_e32 v4, 0x8000, v4
	v_pk_fma_f16 v8, v3, s1, 0xb155 op_sel_hi:[1,0,0]
	v_pk_fma_f16 v10, v3, s7, 0xb7ff op_sel_hi:[1,0,0]
	s_delay_alu instid0(VALU_DEP_2) | instskip(NEXT) | instid1(VALU_DEP_2)
	v_pk_mul_f16 v8, v3, v8
	v_pk_fma_f16 v3, v3, v10, 1.0 op_sel_hi:[1,1,0]
	v_and_b32_e32 v10, 16, v11
	s_delay_alu instid0(VALU_DEP_3) | instskip(SKIP_1) | instid1(VALU_DEP_4)
	v_pk_fma_f16 v2, v2, v8, v2
	v_dual_lshlrev_b32 v8, 4, v5 :: v_dual_lshlrev_b32 v5, 14, v5
	v_lshlrev_b32_e32 v11, 16, v3
	v_bfi_b32 v3, 0xffff, 0, v3
	s_delay_alu instid0(VALU_DEP_4) | instskip(NEXT) | instid1(VALU_DEP_4)
	v_and_b32_e32 v12, 0xffff, v2
	v_dual_lshrrev_b32 v2, 16, v2 :: v_dual_bitop2_b32 v8, 16, v8 bitop3:0x40
	v_and_b32_e32 v5, 0x8000, v5
	s_delay_alu instid0(VALU_DEP_2) | instskip(NEXT) | instid1(VALU_DEP_4)
	v_or_b32_e32 v2, v3, v2
	v_or_b32_e32 v11, v11, v12
	v_xor_b32_e32 v3, v4, v7
	s_delay_alu instid0(VALU_DEP_3) | instskip(NEXT) | instid1(VALU_DEP_1)
	v_dual_lshrrev_b32 v2, v8, v2 :: v_dual_bitop2_b32 v5, v5, v9 bitop3:0x14
	v_dual_lshrrev_b32 v4, v10, v11 :: v_dual_bitop2_b32 v2, v5, v2 bitop3:0x14
	s_delay_alu instid0(VALU_DEP_1) | instskip(NEXT) | instid1(VALU_DEP_1)
	v_xor_b32_e32 v3, v3, v4
	v_cndmask_b32_e32 v1, 0x7e00, v3, vcc_lo
	v_cmp_class_f16_e64 vcc_lo, v6, 0x1f8
	s_delay_alu instid0(VALU_DEP_4) | instskip(NEXT) | instid1(VALU_DEP_3)
	v_cndmask_b32_e32 v3, 0x7e00, v2, vcc_lo
	v_cvt_f32_f16_e32 v2, v1
	s_delay_alu instid0(VALU_DEP_2)
	v_cvt_f32_f16_e32 v3, v3
	s_clause 0x1
	global_store_b64 v0, v[2:3], s[2:3] offset:64
	global_load_b64 v[2:3], v0, s[4:5] offset:72
	s_wait_loadcnt 0x0
	v_cvt_pk_f16_f32 v1, v2, v3
	s_delay_alu instid0(VALU_DEP_1)
	v_readfirstlane_b32 s9, v1
	s_lshr_b32 s12, s9, 16
	s_and_b32 s10, s9, 0x7fff
	s_and_b32 s11, s12, 0x7fff
	s_cvt_f32_f16 s13, s10
	s_cvt_f32_f16 s14, s11
	s_delay_alu instid0(SALU_CYCLE_2) | instskip(NEXT) | instid1(SALU_CYCLE_2)
	s_mul_f32 s10, s13, 0x3f22f983
	s_mul_f32 s11, s14, 0x3f22f983
	v_dual_mov_b32 v2, s13 :: v_dual_mov_b32 v3, s14
	s_delay_alu instid0(SALU_CYCLE_1) | instskip(NEXT) | instid1(SALU_CYCLE_1)
	s_rndne_f32 s10, s10
	s_rndne_f32 s11, s11
	s_delay_alu instid0(SALU_CYCLE_3) | instskip(NEXT) | instid1(VALU_DEP_1)
	v_mov_b64_e32 v[4:5], s[10:11]
	v_pk_fma_f32 v[2:3], v[4:5], s[0:1], v[2:3] op_sel_hi:[1,0,1]
	s_delay_alu instid0(VALU_DEP_1) | instskip(SKIP_1) | instid1(VALU_DEP_1)
	v_pk_fma_f32 v[2:3], v[4:5], s[6:7], v[2:3] op_sel_hi:[1,0,1]
	s_cvt_i32_f32 s6, s10
	v_pk_fma_f32 v[2:3], v[4:5], s[8:9], v[2:3] op_sel_hi:[1,0,1]
	s_delay_alu instid0(VALU_DEP_1) | instskip(NEXT) | instid1(VALU_DEP_1)
	v_cvt_pk_f16_f32 v1, v2, v3
	v_pk_mul_f16 v2, v1, v1
	s_delay_alu instid0(VALU_DEP_1) | instskip(SKIP_2) | instid1(VALU_DEP_2)
	v_pk_fma_f16 v3, v2, s1, 0xb155 op_sel_hi:[1,0,0]
	v_pk_fma_f16 v4, v2, s7, 0xb7ff op_sel_hi:[1,0,0]
	s_cvt_i32_f32 s7, s11
	v_pk_mul_f16 v3, v2, v3
	s_delay_alu instid0(SALU_CYCLE_2) | instskip(NEXT) | instid1(VALU_DEP_2)
	s_and_b64 s[0:1], s[6:7], 0x100000001
	v_pk_fma_f16 v2, v2, v4, 1.0 op_sel_hi:[1,1,0]
	s_cmp_eq_u32 s1, 0
	s_delay_alu instid0(VALU_DEP_2) | instskip(SKIP_3) | instid1(VALU_DEP_1)
	v_pk_fma_f16 v1, v1, v3, v1
	s_cselect_b32 vcc_lo, -1, 0
	s_cmp_eq_u32 s0, 0
	s_cselect_b32 s0, -1, 0
	v_xor_b32_e32 v1, 0x80008000, v1
	s_delay_alu instid0(VALU_DEP_1) | instskip(SKIP_2) | instid1(SALU_CYCLE_1)
	v_dual_lshrrev_b32 v3, 16, v2 :: v_dual_lshrrev_b32 v4, 16, v1
	v_cndmask_b32_e64 v1, v1, v2, s0
	s_pack_ll_b32_b16 s0, s6, s7
	v_pk_lshlrev_b16 v2, 14, s0 op_sel_hi:[0,1]
	s_delay_alu instid0(VALU_DEP_3) | instskip(NEXT) | instid1(VALU_DEP_3)
	v_cndmask_b32_e32 v3, v4, v3, vcc_lo
	v_and_b32_e32 v1, 0xffff, v1
	v_cmp_class_f16_e64 vcc_lo, s9, 0x1f8
	s_mov_b32 s0, 0x3f317218
	v_and_b32_e32 v2, 0x80008000, v2
	v_lshl_or_b32 v1, v3, 16, v1
	s_delay_alu instid0(VALU_DEP_1) | instskip(NEXT) | instid1(VALU_DEP_1)
	v_xor_b32_e32 v1, v2, v1
	v_dual_cndmask_b32 v1, 0x7e00, v1 :: v_dual_lshrrev_b32 v2, 16, v1
	v_cmp_class_f16_e64 vcc_lo, s12, 0x1f8
	s_delay_alu instid0(VALU_DEP_2) | instskip(NEXT) | instid1(VALU_DEP_3)
	v_cndmask_b32_e32 v3, 0x7e00, v2, vcc_lo
	v_cvt_f32_f16_e32 v2, v1
	s_delay_alu instid0(VALU_DEP_2)
	v_cvt_f32_f16_e32 v3, v3
	s_clause 0x1
	global_store_b64 v0, v[2:3], s[2:3] offset:72
	global_load_b64 v[2:3], v0, s[4:5] offset:80
	s_wait_loadcnt 0x0
	v_cvt_f16_f32_e32 v1, v2
	v_cvt_f16_f32_e32 v2, v3
	s_delay_alu instid0(VALU_DEP_2) | instskip(NEXT) | instid1(VALU_DEP_2)
	v_cvt_f32_f16_e32 v1, v1
	v_cvt_f32_f16_e32 v2, v2
	s_delay_alu instid0(VALU_DEP_1) | instskip(NEXT) | instid1(VALU_DEP_1)
	v_dual_mul_f32 v1, 0x3fb8aa3b, v1 :: v_dual_mul_f32 v2, 0x3fb8aa3b, v2
	v_exp_f32_e32 v1, v1
	s_delay_alu instid0(VALU_DEP_1) | instskip(NEXT) | instid1(TRANS32_DEP_2)
	v_exp_f32_e32 v2, v2
	v_cvt_f16_f32_e32 v1, v1
	s_delay_alu instid0(TRANS32_DEP_1) | instskip(NEXT) | instid1(VALU_DEP_2)
	v_cvt_f16_f32_e32 v3, v2
	v_cvt_f32_f16_e32 v2, v1
	s_delay_alu instid0(VALU_DEP_2)
	v_cvt_f32_f16_e32 v3, v3
	s_clause 0x1
	global_store_b64 v0, v[2:3], s[2:3] offset:80
	global_load_b64 v[2:3], v0, s[4:5] offset:88
	s_wait_loadcnt 0x0
	v_cvt_f16_f32_e32 v1, v2
	v_cvt_f16_f32_e32 v2, v3
	s_delay_alu instid0(VALU_DEP_2) | instskip(NEXT) | instid1(VALU_DEP_1)
	v_exp_f16_e32 v1, v1
	v_exp_f16_e32 v3, v2
	v_nop
	s_delay_alu instid0(TRANS32_DEP_2) | instskip(NEXT) | instid1(TRANS32_DEP_1)
	v_cvt_f32_f16_e32 v2, v1
	v_cvt_f32_f16_e32 v3, v3
	s_clause 0x1
	global_store_b64 v0, v[2:3], s[2:3] offset:88
	global_load_b64 v[2:3], v0, s[4:5] offset:96
	s_wait_loadcnt 0x0
	v_cvt_f16_f32_e32 v1, v2
	v_cvt_f16_f32_e32 v2, v3
	s_delay_alu instid0(VALU_DEP_2) | instskip(NEXT) | instid1(VALU_DEP_1)
	v_log_f16_e32 v1, v1
	v_log_f16_e32 v3, v2
	v_nop
	s_delay_alu instid0(TRANS32_DEP_2) | instskip(NEXT) | instid1(TRANS32_DEP_1)
	v_cvt_f32_f16_e32 v2, v1
	v_cvt_f32_f16_e32 v3, v3
	s_clause 0x1
	global_store_b64 v0, v[2:3], s[2:3] offset:96
	global_load_b64 v[2:3], v0, s[4:5] offset:104
	s_wait_loadcnt 0x0
	v_cvt_f16_f32_e32 v1, v2
	v_cvt_f16_f32_e32 v2, v3
	s_delay_alu instid0(VALU_DEP_2) | instskip(NEXT) | instid1(VALU_DEP_2)
	v_cvt_f32_f16_e32 v1, v1
	v_cvt_f32_f16_e32 v2, v2
	s_delay_alu instid0(VALU_DEP_2) | instskip(NEXT) | instid1(VALU_DEP_1)
	v_log_f32_e32 v1, v1
	v_log_f32_e32 v2, v2
	s_delay_alu instid0(TRANS32_DEP_2) | instskip(NEXT) | instid1(TRANS32_DEP_1)
	v_fma_mixlo_f16 v1, v1, s0, 0
	v_fma_mixlo_f16 v3, v2, s0, 0
	s_mov_b32 s0, 0x3e9a209b
	s_delay_alu instid0(VALU_DEP_2) | instskip(NEXT) | instid1(VALU_DEP_2)
	v_cvt_f32_f16_e32 v2, v1
	v_cvt_f32_f16_e32 v3, v3
	s_clause 0x1
	global_store_b64 v0, v[2:3], s[2:3] offset:104
	global_load_b64 v[2:3], v0, s[4:5] offset:112
	s_wait_loadcnt 0x0
	v_cvt_f16_f32_e32 v1, v2
	v_cvt_f16_f32_e32 v2, v3
	s_delay_alu instid0(VALU_DEP_2) | instskip(NEXT) | instid1(VALU_DEP_2)
	v_cvt_f32_f16_e32 v1, v1
	v_cvt_f32_f16_e32 v2, v2
	s_delay_alu instid0(VALU_DEP_2) | instskip(NEXT) | instid1(VALU_DEP_1)
	v_log_f32_e32 v1, v1
	v_log_f32_e32 v2, v2
	s_delay_alu instid0(TRANS32_DEP_2) | instskip(NEXT) | instid1(TRANS32_DEP_1)
	v_fma_mixlo_f16 v1, v1, s0, 0
	v_fma_mixlo_f16 v3, v2, s0, 0
	s_delay_alu instid0(VALU_DEP_2) | instskip(NEXT) | instid1(VALU_DEP_2)
	v_cvt_f32_f16_e32 v2, v1
	v_cvt_f32_f16_e32 v3, v3
	s_clause 0x1
	global_store_b64 v0, v[2:3], s[2:3] offset:112
	global_load_b64 v[2:3], v0, s[4:5] offset:120
	s_wait_loadcnt 0x0
	v_cvt_f16_f32_e32 v1, v2
	v_cvt_f16_f32_e32 v2, v3
	s_delay_alu instid0(VALU_DEP_2) | instskip(NEXT) | instid1(VALU_DEP_1)
	v_sqrt_f16_e32 v1, v1
	v_sqrt_f16_e32 v3, v2
	v_nop
	s_delay_alu instid0(TRANS32_DEP_2) | instskip(NEXT) | instid1(TRANS32_DEP_1)
	v_cvt_f32_f16_e32 v2, v1
	v_cvt_f32_f16_e32 v3, v3
	s_clause 0x1
	global_store_b64 v0, v[2:3], s[2:3] offset:120
	global_load_b64 v[2:3], v0, s[4:5] offset:128
	s_wait_loadcnt 0x0
	v_xor_b32_e32 v1, 0x80000000, v3
	v_xor_b32_e32 v2, 0x80000000, v2
	s_delay_alu instid0(VALU_DEP_2) | instskip(NEXT) | instid1(VALU_DEP_2)
	v_cvt_f16_f32_e32 v1, v1
	v_cvt_f16_f32_e32 v2, v2
	s_delay_alu instid0(VALU_DEP_2) | instskip(NEXT) | instid1(VALU_DEP_2)
	v_cvt_f32_f16_e32 v3, v1
	v_cvt_f32_f16_e32 v2, v2
	s_clause 0x1
	global_store_b64 v0, v[2:3], s[2:3] offset:128
	global_load_b64 v[2:3], v0, s[4:5] offset:136
	s_wait_loadcnt 0x0
	v_cvt_f16_f32_e32 v1, v3
	v_cvt_f16_f32_e32 v2, v2
	s_delay_alu instid0(VALU_DEP_2) | instskip(NEXT) | instid1(VALU_DEP_1)
	v_rcp_f16_e32 v1, v1
	v_rcp_f16_e32 v2, v2
	s_delay_alu instid0(TRANS32_DEP_2) | instskip(NEXT) | instid1(TRANS32_DEP_1)
	v_cvt_f32_f16_e32 v3, v1
	v_cvt_f32_f16_e32 v2, v2
	global_store_b64 v0, v[2:3], s[2:3] offset:136
	s_endpgm
	.section	.rodata,"a",@progbits
	.p2align	6, 0x0
	.amdhsa_kernel _Z15fp162_arith_gpuP15HIP_vector_typeIfLj2EES1_S1_
		.amdhsa_group_segment_fixed_size 0
		.amdhsa_private_segment_fixed_size 0
		.amdhsa_kernarg_size 24
		.amdhsa_user_sgpr_count 2
		.amdhsa_user_sgpr_dispatch_ptr 0
		.amdhsa_user_sgpr_queue_ptr 0
		.amdhsa_user_sgpr_kernarg_segment_ptr 1
		.amdhsa_user_sgpr_dispatch_id 0
		.amdhsa_user_sgpr_kernarg_preload_length 0
		.amdhsa_user_sgpr_kernarg_preload_offset 0
		.amdhsa_user_sgpr_private_segment_size 0
		.amdhsa_wavefront_size32 1
		.amdhsa_uses_dynamic_stack 0
		.amdhsa_enable_private_segment 0
		.amdhsa_system_sgpr_workgroup_id_x 1
		.amdhsa_system_sgpr_workgroup_id_y 0
		.amdhsa_system_sgpr_workgroup_id_z 0
		.amdhsa_system_sgpr_workgroup_info 0
		.amdhsa_system_vgpr_workitem_id 0
		.amdhsa_next_free_vgpr 13
		.amdhsa_next_free_sgpr 15
		.amdhsa_named_barrier_count 0
		.amdhsa_reserve_vcc 1
		.amdhsa_float_round_mode_32 0
		.amdhsa_float_round_mode_16_64 0
		.amdhsa_float_denorm_mode_32 3
		.amdhsa_float_denorm_mode_16_64 3
		.amdhsa_fp16_overflow 0
		.amdhsa_memory_ordered 1
		.amdhsa_forward_progress 1
		.amdhsa_inst_pref_size 19
		.amdhsa_round_robin_scheduling 0
		.amdhsa_exception_fp_ieee_invalid_op 0
		.amdhsa_exception_fp_denorm_src 0
		.amdhsa_exception_fp_ieee_div_zero 0
		.amdhsa_exception_fp_ieee_overflow 0
		.amdhsa_exception_fp_ieee_underflow 0
		.amdhsa_exception_fp_ieee_inexact 0
		.amdhsa_exception_int_div_zero 0
	.end_amdhsa_kernel
	.text
.Lfunc_end1:
	.size	_Z15fp162_arith_gpuP15HIP_vector_typeIfLj2EES1_S1_, .Lfunc_end1-_Z15fp162_arith_gpuP15HIP_vector_typeIfLj2EES1_S1_
                                        ; -- End function
	.set _Z15fp162_arith_gpuP15HIP_vector_typeIfLj2EES1_S1_.num_vgpr, 13
	.set _Z15fp162_arith_gpuP15HIP_vector_typeIfLj2EES1_S1_.num_agpr, 0
	.set _Z15fp162_arith_gpuP15HIP_vector_typeIfLj2EES1_S1_.numbered_sgpr, 15
	.set _Z15fp162_arith_gpuP15HIP_vector_typeIfLj2EES1_S1_.num_named_barrier, 0
	.set _Z15fp162_arith_gpuP15HIP_vector_typeIfLj2EES1_S1_.private_seg_size, 0
	.set _Z15fp162_arith_gpuP15HIP_vector_typeIfLj2EES1_S1_.uses_vcc, 1
	.set _Z15fp162_arith_gpuP15HIP_vector_typeIfLj2EES1_S1_.uses_flat_scratch, 0
	.set _Z15fp162_arith_gpuP15HIP_vector_typeIfLj2EES1_S1_.has_dyn_sized_stack, 0
	.set _Z15fp162_arith_gpuP15HIP_vector_typeIfLj2EES1_S1_.has_recursion, 0
	.set _Z15fp162_arith_gpuP15HIP_vector_typeIfLj2EES1_S1_.has_indirect_call, 0
	.section	.AMDGPU.csdata,"",@progbits
; Kernel info:
; codeLenInByte = 2324
; TotalNumSgprs: 17
; NumVgprs: 13
; ScratchSize: 0
; MemoryBound: 0
; FloatMode: 240
; IeeeMode: 1
; LDSByteSize: 0 bytes/workgroup (compile time only)
; SGPRBlocks: 0
; VGPRBlocks: 0
; NumSGPRsForWavesPerEU: 17
; NumVGPRsForWavesPerEU: 13
; NamedBarCnt: 0
; Occupancy: 16
; WaveLimiterHint : 0
; COMPUTE_PGM_RSRC2:SCRATCH_EN: 0
; COMPUTE_PGM_RSRC2:USER_SGPR: 2
; COMPUTE_PGM_RSRC2:TRAP_HANDLER: 0
; COMPUTE_PGM_RSRC2:TGID_X_EN: 1
; COMPUTE_PGM_RSRC2:TGID_Y_EN: 0
; COMPUTE_PGM_RSRC2:TGID_Z_EN: 0
; COMPUTE_PGM_RSRC2:TIDIG_COMP_CNT: 0
	.text
	.p2alignl 7, 3214868480
	.fill 96, 4, 3214868480
	.section	.AMDGPU.gpr_maximums,"",@progbits
	.set amdgpu.max_num_vgpr, 0
	.set amdgpu.max_num_agpr, 0
	.set amdgpu.max_num_sgpr, 0
	.text
	.type	__hip_cuid_f3fbe9cc1926dbe5,@object ; @__hip_cuid_f3fbe9cc1926dbe5
	.section	.bss,"aw",@nobits
	.globl	__hip_cuid_f3fbe9cc1926dbe5
__hip_cuid_f3fbe9cc1926dbe5:
	.byte	0                               ; 0x0
	.size	__hip_cuid_f3fbe9cc1926dbe5, 1

	.ident	"AMD clang version 22.0.0git (https://github.com/RadeonOpenCompute/llvm-project roc-7.2.4 26084 f58b06dce1f9c15707c5f808fd002e18c2accf7e)"
	.section	".note.GNU-stack","",@progbits
	.addrsig
	.addrsig_sym __hip_cuid_f3fbe9cc1926dbe5
	.amdgpu_metadata
---
amdhsa.kernels:
  - .args:
      - .address_space:  global
        .offset:         0
        .size:           8
        .value_kind:     global_buffer
      - .address_space:  global
        .offset:         8
        .size:           8
        .value_kind:     global_buffer
      - .address_space:  global
        .offset:         16
        .size:           8
        .value_kind:     global_buffer
    .group_segment_fixed_size: 0
    .kernarg_segment_align: 8
    .kernarg_segment_size: 24
    .language:       OpenCL C
    .language_version:
      - 2
      - 0
    .max_flat_workgroup_size: 1024
    .name:           _Z14fp16_arith_gpuPfS_S_
    .private_segment_fixed_size: 0
    .sgpr_count:     13
    .sgpr_spill_count: 0
    .symbol:         _Z14fp16_arith_gpuPfS_S_.kd
    .uniform_work_group_size: 1
    .uses_dynamic_stack: false
    .vgpr_count:     6
    .vgpr_spill_count: 0
    .wavefront_size: 32
  - .args:
      - .address_space:  global
        .offset:         0
        .size:           8
        .value_kind:     global_buffer
      - .address_space:  global
        .offset:         8
        .size:           8
        .value_kind:     global_buffer
      - .address_space:  global
        .offset:         16
        .size:           8
        .value_kind:     global_buffer
    .group_segment_fixed_size: 0
    .kernarg_segment_align: 8
    .kernarg_segment_size: 24
    .language:       OpenCL C
    .language_version:
      - 2
      - 0
    .max_flat_workgroup_size: 1024
    .name:           _Z15fp162_arith_gpuP15HIP_vector_typeIfLj2EES1_S1_
    .private_segment_fixed_size: 0
    .sgpr_count:     17
    .sgpr_spill_count: 0
    .symbol:         _Z15fp162_arith_gpuP15HIP_vector_typeIfLj2EES1_S1_.kd
    .uniform_work_group_size: 1
    .uses_dynamic_stack: false
    .vgpr_count:     13
    .vgpr_spill_count: 0
    .wavefront_size: 32
amdhsa.target:   amdgcn-amd-amdhsa--gfx1250
amdhsa.version:
  - 1
  - 2
...

	.end_amdgpu_metadata
